;; amdgpu-corpus repo=ROCm/rocFFT kind=compiled arch=gfx1201 opt=O3
	.text
	.amdgcn_target "amdgcn-amd-amdhsa--gfx1201"
	.amdhsa_code_object_version 6
	.protected	fft_rtc_fwd_len2916_factors_6_6_3_3_3_3_wgs_243_tpt_243_halfLds_half_ip_CI_unitstride_sbrr_C2R_dirReg ; -- Begin function fft_rtc_fwd_len2916_factors_6_6_3_3_3_3_wgs_243_tpt_243_halfLds_half_ip_CI_unitstride_sbrr_C2R_dirReg
	.globl	fft_rtc_fwd_len2916_factors_6_6_3_3_3_3_wgs_243_tpt_243_halfLds_half_ip_CI_unitstride_sbrr_C2R_dirReg
	.p2align	8
	.type	fft_rtc_fwd_len2916_factors_6_6_3_3_3_3_wgs_243_tpt_243_halfLds_half_ip_CI_unitstride_sbrr_C2R_dirReg,@function
fft_rtc_fwd_len2916_factors_6_6_3_3_3_3_wgs_243_tpt_243_halfLds_half_ip_CI_unitstride_sbrr_C2R_dirReg: ; @fft_rtc_fwd_len2916_factors_6_6_3_3_3_3_wgs_243_tpt_243_halfLds_half_ip_CI_unitstride_sbrr_C2R_dirReg
; %bb.0:
	s_clause 0x2
	s_load_b128 s[4:7], s[0:1], 0x0
	s_load_b64 s[8:9], s[0:1], 0x50
	s_load_b64 s[10:11], s[0:1], 0x18
	v_mul_u32_u24_e32 v1, 0x10e, v0
	v_mov_b32_e32 v3, 0
	s_delay_alu instid0(VALU_DEP_2) | instskip(NEXT) | instid1(VALU_DEP_1)
	v_lshrrev_b32_e32 v1, 16, v1
	v_add_nc_u32_e32 v5, ttmp9, v1
	v_mov_b32_e32 v1, 0
	v_mov_b32_e32 v2, 0
	;; [unrolled: 1-line block ×3, first 2 shown]
	s_wait_kmcnt 0x0
	v_cmp_lt_u64_e64 s2, s[6:7], 2
	s_delay_alu instid0(VALU_DEP_1)
	s_and_b32 vcc_lo, exec_lo, s2
	s_cbranch_vccnz .LBB0_8
; %bb.1:
	s_load_b64 s[2:3], s[0:1], 0x10
	v_mov_b32_e32 v1, 0
	v_mov_b32_e32 v2, 0
	s_add_nc_u64 s[12:13], s[10:11], 8
	s_mov_b64 s[14:15], 1
	s_wait_kmcnt 0x0
	s_add_nc_u64 s[16:17], s[2:3], 8
	s_mov_b32 s3, 0
.LBB0_2:                                ; =>This Inner Loop Header: Depth=1
	s_load_b64 s[18:19], s[16:17], 0x0
                                        ; implicit-def: $vgpr7_vgpr8
	s_mov_b32 s2, exec_lo
	s_wait_kmcnt 0x0
	v_or_b32_e32 v4, s19, v6
	s_delay_alu instid0(VALU_DEP_1)
	v_cmpx_ne_u64_e32 0, v[3:4]
	s_wait_alu 0xfffe
	s_xor_b32 s20, exec_lo, s2
	s_cbranch_execz .LBB0_4
; %bb.3:                                ;   in Loop: Header=BB0_2 Depth=1
	s_cvt_f32_u32 s2, s18
	s_cvt_f32_u32 s21, s19
	s_sub_nc_u64 s[24:25], 0, s[18:19]
	s_wait_alu 0xfffe
	s_delay_alu instid0(SALU_CYCLE_1) | instskip(SKIP_1) | instid1(SALU_CYCLE_2)
	s_fmamk_f32 s2, s21, 0x4f800000, s2
	s_wait_alu 0xfffe
	v_s_rcp_f32 s2, s2
	s_delay_alu instid0(TRANS32_DEP_1) | instskip(SKIP_1) | instid1(SALU_CYCLE_2)
	s_mul_f32 s2, s2, 0x5f7ffffc
	s_wait_alu 0xfffe
	s_mul_f32 s21, s2, 0x2f800000
	s_wait_alu 0xfffe
	s_delay_alu instid0(SALU_CYCLE_2) | instskip(SKIP_1) | instid1(SALU_CYCLE_2)
	s_trunc_f32 s21, s21
	s_wait_alu 0xfffe
	s_fmamk_f32 s2, s21, 0xcf800000, s2
	s_cvt_u32_f32 s23, s21
	s_wait_alu 0xfffe
	s_delay_alu instid0(SALU_CYCLE_1) | instskip(SKIP_1) | instid1(SALU_CYCLE_2)
	s_cvt_u32_f32 s22, s2
	s_wait_alu 0xfffe
	s_mul_u64 s[26:27], s[24:25], s[22:23]
	s_wait_alu 0xfffe
	s_mul_hi_u32 s29, s22, s27
	s_mul_i32 s28, s22, s27
	s_mul_hi_u32 s2, s22, s26
	s_mul_i32 s30, s23, s26
	s_wait_alu 0xfffe
	s_add_nc_u64 s[28:29], s[2:3], s[28:29]
	s_mul_hi_u32 s21, s23, s26
	s_mul_hi_u32 s31, s23, s27
	s_add_co_u32 s2, s28, s30
	s_wait_alu 0xfffe
	s_add_co_ci_u32 s2, s29, s21
	s_mul_i32 s26, s23, s27
	s_add_co_ci_u32 s27, s31, 0
	s_wait_alu 0xfffe
	s_add_nc_u64 s[26:27], s[2:3], s[26:27]
	s_wait_alu 0xfffe
	v_add_co_u32 v4, s2, s22, s26
	s_delay_alu instid0(VALU_DEP_1) | instskip(SKIP_1) | instid1(VALU_DEP_1)
	s_cmp_lg_u32 s2, 0
	s_add_co_ci_u32 s23, s23, s27
	v_readfirstlane_b32 s22, v4
	s_wait_alu 0xfffe
	s_delay_alu instid0(VALU_DEP_1)
	s_mul_u64 s[24:25], s[24:25], s[22:23]
	s_wait_alu 0xfffe
	s_mul_hi_u32 s27, s22, s25
	s_mul_i32 s26, s22, s25
	s_mul_hi_u32 s2, s22, s24
	s_mul_i32 s28, s23, s24
	s_wait_alu 0xfffe
	s_add_nc_u64 s[26:27], s[2:3], s[26:27]
	s_mul_hi_u32 s21, s23, s24
	s_mul_hi_u32 s22, s23, s25
	s_wait_alu 0xfffe
	s_add_co_u32 s2, s26, s28
	s_add_co_ci_u32 s2, s27, s21
	s_mul_i32 s24, s23, s25
	s_add_co_ci_u32 s25, s22, 0
	s_wait_alu 0xfffe
	s_add_nc_u64 s[24:25], s[2:3], s[24:25]
	s_wait_alu 0xfffe
	v_add_co_u32 v4, s2, v4, s24
	s_delay_alu instid0(VALU_DEP_1) | instskip(SKIP_1) | instid1(VALU_DEP_1)
	s_cmp_lg_u32 s2, 0
	s_add_co_ci_u32 s2, s23, s25
	v_mul_hi_u32 v13, v5, v4
	s_wait_alu 0xfffe
	v_mad_co_u64_u32 v[7:8], null, v5, s2, 0
	v_mad_co_u64_u32 v[9:10], null, v6, v4, 0
	;; [unrolled: 1-line block ×3, first 2 shown]
	s_delay_alu instid0(VALU_DEP_3) | instskip(SKIP_1) | instid1(VALU_DEP_4)
	v_add_co_u32 v4, vcc_lo, v13, v7
	s_wait_alu 0xfffd
	v_add_co_ci_u32_e32 v7, vcc_lo, 0, v8, vcc_lo
	s_delay_alu instid0(VALU_DEP_2) | instskip(SKIP_1) | instid1(VALU_DEP_2)
	v_add_co_u32 v4, vcc_lo, v4, v9
	s_wait_alu 0xfffd
	v_add_co_ci_u32_e32 v4, vcc_lo, v7, v10, vcc_lo
	s_wait_alu 0xfffd
	v_add_co_ci_u32_e32 v7, vcc_lo, 0, v12, vcc_lo
	s_delay_alu instid0(VALU_DEP_2) | instskip(SKIP_1) | instid1(VALU_DEP_2)
	v_add_co_u32 v4, vcc_lo, v4, v11
	s_wait_alu 0xfffd
	v_add_co_ci_u32_e32 v9, vcc_lo, 0, v7, vcc_lo
	s_delay_alu instid0(VALU_DEP_2) | instskip(SKIP_1) | instid1(VALU_DEP_3)
	v_mul_lo_u32 v10, s19, v4
	v_mad_co_u64_u32 v[7:8], null, s18, v4, 0
	v_mul_lo_u32 v11, s18, v9
	s_delay_alu instid0(VALU_DEP_2) | instskip(NEXT) | instid1(VALU_DEP_2)
	v_sub_co_u32 v7, vcc_lo, v5, v7
	v_add3_u32 v8, v8, v11, v10
	s_delay_alu instid0(VALU_DEP_1) | instskip(SKIP_1) | instid1(VALU_DEP_1)
	v_sub_nc_u32_e32 v10, v6, v8
	s_wait_alu 0xfffd
	v_subrev_co_ci_u32_e64 v10, s2, s19, v10, vcc_lo
	v_add_co_u32 v11, s2, v4, 2
	s_wait_alu 0xf1ff
	v_add_co_ci_u32_e64 v12, s2, 0, v9, s2
	v_sub_co_u32 v13, s2, v7, s18
	v_sub_co_ci_u32_e32 v8, vcc_lo, v6, v8, vcc_lo
	s_wait_alu 0xf1ff
	v_subrev_co_ci_u32_e64 v10, s2, 0, v10, s2
	s_delay_alu instid0(VALU_DEP_3) | instskip(NEXT) | instid1(VALU_DEP_3)
	v_cmp_le_u32_e32 vcc_lo, s18, v13
	v_cmp_eq_u32_e64 s2, s19, v8
	s_wait_alu 0xfffd
	v_cndmask_b32_e64 v13, 0, -1, vcc_lo
	v_cmp_le_u32_e32 vcc_lo, s19, v10
	s_wait_alu 0xfffd
	v_cndmask_b32_e64 v14, 0, -1, vcc_lo
	v_cmp_le_u32_e32 vcc_lo, s18, v7
	;; [unrolled: 3-line block ×3, first 2 shown]
	s_wait_alu 0xfffd
	v_cndmask_b32_e64 v15, 0, -1, vcc_lo
	v_cmp_eq_u32_e32 vcc_lo, s19, v10
	s_wait_alu 0xf1ff
	s_delay_alu instid0(VALU_DEP_2)
	v_cndmask_b32_e64 v7, v15, v7, s2
	s_wait_alu 0xfffd
	v_cndmask_b32_e32 v10, v14, v13, vcc_lo
	v_add_co_u32 v13, vcc_lo, v4, 1
	s_wait_alu 0xfffd
	v_add_co_ci_u32_e32 v14, vcc_lo, 0, v9, vcc_lo
	s_delay_alu instid0(VALU_DEP_3) | instskip(SKIP_2) | instid1(VALU_DEP_3)
	v_cmp_ne_u32_e32 vcc_lo, 0, v10
	s_wait_alu 0xfffd
	v_cndmask_b32_e32 v10, v13, v11, vcc_lo
	v_cndmask_b32_e32 v8, v14, v12, vcc_lo
	v_cmp_ne_u32_e32 vcc_lo, 0, v7
	s_wait_alu 0xfffd
	s_delay_alu instid0(VALU_DEP_2)
	v_dual_cndmask_b32 v7, v4, v10 :: v_dual_cndmask_b32 v8, v9, v8
.LBB0_4:                                ;   in Loop: Header=BB0_2 Depth=1
	s_wait_alu 0xfffe
	s_and_not1_saveexec_b32 s2, s20
	s_cbranch_execz .LBB0_6
; %bb.5:                                ;   in Loop: Header=BB0_2 Depth=1
	v_cvt_f32_u32_e32 v4, s18
	s_sub_co_i32 s20, 0, s18
	s_delay_alu instid0(VALU_DEP_1) | instskip(NEXT) | instid1(TRANS32_DEP_1)
	v_rcp_iflag_f32_e32 v4, v4
	v_mul_f32_e32 v4, 0x4f7ffffe, v4
	s_delay_alu instid0(VALU_DEP_1) | instskip(SKIP_1) | instid1(VALU_DEP_1)
	v_cvt_u32_f32_e32 v4, v4
	s_wait_alu 0xfffe
	v_mul_lo_u32 v7, s20, v4
	s_delay_alu instid0(VALU_DEP_1) | instskip(NEXT) | instid1(VALU_DEP_1)
	v_mul_hi_u32 v7, v4, v7
	v_add_nc_u32_e32 v4, v4, v7
	s_delay_alu instid0(VALU_DEP_1) | instskip(NEXT) | instid1(VALU_DEP_1)
	v_mul_hi_u32 v4, v5, v4
	v_mul_lo_u32 v7, v4, s18
	v_add_nc_u32_e32 v8, 1, v4
	s_delay_alu instid0(VALU_DEP_2) | instskip(NEXT) | instid1(VALU_DEP_1)
	v_sub_nc_u32_e32 v7, v5, v7
	v_subrev_nc_u32_e32 v9, s18, v7
	v_cmp_le_u32_e32 vcc_lo, s18, v7
	s_wait_alu 0xfffd
	s_delay_alu instid0(VALU_DEP_2) | instskip(NEXT) | instid1(VALU_DEP_1)
	v_dual_cndmask_b32 v7, v7, v9 :: v_dual_cndmask_b32 v4, v4, v8
	v_cmp_le_u32_e32 vcc_lo, s18, v7
	s_delay_alu instid0(VALU_DEP_2) | instskip(SKIP_1) | instid1(VALU_DEP_1)
	v_add_nc_u32_e32 v8, 1, v4
	s_wait_alu 0xfffd
	v_dual_cndmask_b32 v7, v4, v8 :: v_dual_mov_b32 v8, v3
.LBB0_6:                                ;   in Loop: Header=BB0_2 Depth=1
	s_wait_alu 0xfffe
	s_or_b32 exec_lo, exec_lo, s2
	s_load_b64 s[20:21], s[12:13], 0x0
	s_delay_alu instid0(VALU_DEP_1)
	v_mul_lo_u32 v4, v8, s18
	v_mul_lo_u32 v11, v7, s19
	v_mad_co_u64_u32 v[9:10], null, v7, s18, 0
	s_add_nc_u64 s[14:15], s[14:15], 1
	s_add_nc_u64 s[12:13], s[12:13], 8
	s_wait_alu 0xfffe
	v_cmp_ge_u64_e64 s2, s[14:15], s[6:7]
	s_add_nc_u64 s[16:17], s[16:17], 8
	s_delay_alu instid0(VALU_DEP_2) | instskip(NEXT) | instid1(VALU_DEP_3)
	v_add3_u32 v4, v10, v11, v4
	v_sub_co_u32 v5, vcc_lo, v5, v9
	s_wait_alu 0xfffd
	s_delay_alu instid0(VALU_DEP_2) | instskip(SKIP_3) | instid1(VALU_DEP_2)
	v_sub_co_ci_u32_e32 v4, vcc_lo, v6, v4, vcc_lo
	s_and_b32 vcc_lo, exec_lo, s2
	s_wait_kmcnt 0x0
	v_mul_lo_u32 v6, s21, v5
	v_mul_lo_u32 v4, s20, v4
	v_mad_co_u64_u32 v[1:2], null, s20, v5, v[1:2]
	s_delay_alu instid0(VALU_DEP_1)
	v_add3_u32 v2, v6, v2, v4
	s_wait_alu 0xfffe
	s_cbranch_vccnz .LBB0_9
; %bb.7:                                ;   in Loop: Header=BB0_2 Depth=1
	v_dual_mov_b32 v5, v7 :: v_dual_mov_b32 v6, v8
	s_branch .LBB0_2
.LBB0_8:
	v_dual_mov_b32 v8, v6 :: v_dual_mov_b32 v7, v5
.LBB0_9:
	s_lshl_b64 s[2:3], s[6:7], 3
	v_mul_hi_u32 v5, 0x10db20b, v0
	s_wait_alu 0xfffe
	s_add_nc_u64 s[2:3], s[10:11], s[2:3]
	s_load_b64 s[2:3], s[2:3], 0x0
	s_load_b64 s[0:1], s[0:1], 0x20
	s_wait_kmcnt 0x0
	v_mul_lo_u32 v3, s2, v8
	v_mul_lo_u32 v4, s3, v7
	v_mad_co_u64_u32 v[1:2], null, s2, v7, v[1:2]
	v_cmp_gt_u64_e32 vcc_lo, s[0:1], v[7:8]
	s_delay_alu instid0(VALU_DEP_2) | instskip(SKIP_1) | instid1(VALU_DEP_2)
	v_add3_u32 v2, v4, v2, v3
	v_mul_u32_u24_e32 v4, 0xf3, v5
	v_lshlrev_b64_e32 v[2:3], 2, v[1:2]
	s_delay_alu instid0(VALU_DEP_2)
	v_sub_nc_u32_e32 v0, v0, v4
	s_and_saveexec_b32 s1, vcc_lo
	s_cbranch_execz .LBB0_13
; %bb.10:
	v_mov_b32_e32 v1, 0
	s_delay_alu instid0(VALU_DEP_3) | instskip(SKIP_2) | instid1(VALU_DEP_3)
	v_add_co_u32 v4, s0, s8, v2
	s_wait_alu 0xf1ff
	v_add_co_ci_u32_e64 v5, s0, s9, v3, s0
	v_lshlrev_b64_e32 v[6:7], 2, v[0:1]
	s_mov_b32 s2, exec_lo
	s_delay_alu instid0(VALU_DEP_1) | instskip(SKIP_1) | instid1(VALU_DEP_2)
	v_add_co_u32 v6, s0, v4, v6
	s_wait_alu 0xf1ff
	v_add_co_ci_u32_e64 v7, s0, v5, v7, s0
	s_clause 0xb
	global_load_b32 v8, v[6:7], off
	global_load_b32 v9, v[6:7], off offset:972
	global_load_b32 v10, v[6:7], off offset:1944
	;; [unrolled: 1-line block ×11, first 2 shown]
	v_lshl_add_u32 v7, v0, 2, 0
	s_delay_alu instid0(VALU_DEP_1)
	v_add_nc_u32_e32 v20, 0xf00, v7
	v_add_nc_u32_e32 v19, 0x780, v7
	;; [unrolled: 1-line block ×5, first 2 shown]
	s_wait_loadcnt 0xa
	ds_store_2addr_b32 v7, v8, v9 offset1:243
	s_wait_loadcnt 0x8
	ds_store_2addr_b32 v19, v10, v11 offset0:6 offset1:249
	s_wait_loadcnt 0x6
	ds_store_2addr_b32 v20, v12, v13 offset0:12 offset1:255
	;; [unrolled: 2-line block ×5, first 2 shown]
	v_cmpx_eq_u32_e32 0xf2, v0
	s_cbranch_execz .LBB0_12
; %bb.11:
	global_load_b32 v4, v[4:5], off offset:11664
	v_mov_b32_e32 v0, 0xf2
	s_wait_loadcnt 0x0
	ds_store_b32 v1, v4 offset:11664
.LBB0_12:
	s_wait_alu 0xfffe
	s_or_b32 exec_lo, exec_lo, s2
.LBB0_13:
	s_wait_alu 0xfffe
	s_or_b32 exec_lo, exec_lo, s1
	v_lshlrev_b32_e32 v1, 2, v0
	global_wb scope:SCOPE_SE
	s_wait_dscnt 0x0
	s_barrier_signal -1
	s_barrier_wait -1
	global_inv scope:SCOPE_SE
	v_add_nc_u32_e32 v8, 0, v1
	v_sub_nc_u32_e32 v6, 0, v1
	s_mov_b32 s1, exec_lo
                                        ; implicit-def: $vgpr4_vgpr5
	ds_load_u16 v10, v8
	ds_load_u16 v11, v6 offset:11664
	s_wait_dscnt 0x0
	v_add_f16_e32 v9, v11, v10
	v_sub_f16_e32 v7, v10, v11
	v_cmpx_ne_u32_e32 0, v0
	s_wait_alu 0xfffe
	s_xor_b32 s1, exec_lo, s1
	s_cbranch_execz .LBB0_15
; %bb.14:
	v_mov_b32_e32 v1, 0
	v_add_f16_e32 v9, v11, v10
	v_sub_f16_e32 v10, v10, v11
	s_delay_alu instid0(VALU_DEP_3) | instskip(NEXT) | instid1(VALU_DEP_1)
	v_lshlrev_b64_e32 v[4:5], 2, v[0:1]
	v_add_co_u32 v4, s0, s4, v4
	s_wait_alu 0xf1ff
	s_delay_alu instid0(VALU_DEP_2)
	v_add_co_ci_u32_e64 v5, s0, s5, v5, s0
	global_load_b32 v4, v[4:5], off offset:11640
	ds_load_u16 v5, v6 offset:11666
	ds_load_u16 v7, v8 offset:2
	s_wait_dscnt 0x0
	v_add_f16_e32 v11, v5, v7
	v_sub_f16_e32 v5, v7, v5
	s_wait_loadcnt 0x0
	v_lshrrev_b32_e32 v12, 16, v4
	s_delay_alu instid0(VALU_DEP_1) | instskip(NEXT) | instid1(VALU_DEP_3)
	v_fma_f16 v13, -v10, v12, v9
	v_fma_f16 v14, v11, v12, -v5
	v_fma_f16 v7, v11, v12, v5
	v_fma_f16 v9, v10, v12, v9
	s_delay_alu instid0(VALU_DEP_4) | instskip(NEXT) | instid1(VALU_DEP_4)
	v_fmac_f16_e32 v13, v4, v11
	v_fmac_f16_e32 v14, v10, v4
	s_delay_alu instid0(VALU_DEP_4) | instskip(NEXT) | instid1(VALU_DEP_4)
	v_fmac_f16_e32 v7, v10, v4
	v_fma_f16 v9, -v4, v11, v9
	v_dual_mov_b32 v5, v1 :: v_dual_mov_b32 v4, v0
	s_delay_alu instid0(VALU_DEP_4)
	v_pack_b32_f16 v10, v13, v14
	ds_store_b32 v6, v10 offset:11664
.LBB0_15:
	s_wait_alu 0xfffe
	s_and_not1_saveexec_b32 s0, s1
	s_cbranch_execz .LBB0_17
; %bb.16:
	v_mov_b32_e32 v1, 0
	ds_load_b32 v4, v1 offset:5832
	s_wait_dscnt 0x0
	v_pk_mul_f16 v10, 0xc0004000, v4
	v_mov_b32_e32 v4, 0
	v_mov_b32_e32 v5, 0
	ds_store_b32 v1, v10 offset:5832
.LBB0_17:
	s_wait_alu 0xfffe
	s_or_b32 exec_lo, exec_lo, s0
	v_lshlrev_b64_e32 v[4:5], 2, v[4:5]
	s_add_nc_u64 s[0:1], s[4:5], 0x2d78
	s_wait_alu 0xfffe
	s_delay_alu instid0(VALU_DEP_1) | instskip(SKIP_1) | instid1(VALU_DEP_2)
	v_add_co_u32 v4, s0, s0, v4
	s_wait_alu 0xf1ff
	v_add_co_ci_u32_e64 v5, s0, s1, v5, s0
	v_cmp_gt_u32_e64 s0, 0x51, v0
	s_clause 0x4
	global_load_b32 v1, v[4:5], off offset:972
	global_load_b32 v10, v[4:5], off offset:1944
	;; [unrolled: 1-line block ×5, first 2 shown]
	v_perm_b32 v4, v7, v9, 0x5040100
	ds_store_b32 v8, v4
	ds_load_b32 v4, v8 offset:972
	ds_load_b32 v7, v6 offset:10692
	s_wait_dscnt 0x1
	v_lshrrev_b32_e32 v9, 16, v4
	s_wait_dscnt 0x0
	v_lshrrev_b32_e32 v13, 16, v7
	v_add_f16_e32 v14, v4, v7
	v_sub_f16_e32 v4, v4, v7
	s_delay_alu instid0(VALU_DEP_3) | instskip(SKIP_3) | instid1(VALU_DEP_1)
	v_add_f16_e32 v7, v13, v9
	v_sub_f16_e32 v9, v9, v13
	s_wait_loadcnt 0x4
	v_lshrrev_b32_e32 v15, 16, v1
	v_fma_f16 v13, v4, v15, v14
	s_delay_alu instid0(VALU_DEP_3) | instskip(SKIP_2) | instid1(VALU_DEP_4)
	v_fma_f16 v16, v7, v15, v9
	v_fma_f16 v14, -v4, v15, v14
	v_fma_f16 v9, v7, v15, -v9
	v_fma_f16 v13, -v1, v7, v13
	s_delay_alu instid0(VALU_DEP_4) | instskip(NEXT) | instid1(VALU_DEP_4)
	v_fmac_f16_e32 v16, v4, v1
	v_fmac_f16_e32 v14, v1, v7
	s_delay_alu instid0(VALU_DEP_4) | instskip(NEXT) | instid1(VALU_DEP_3)
	v_fmac_f16_e32 v9, v4, v1
	v_pack_b32_f16 v1, v13, v16
	s_wait_loadcnt 0x3
	v_lshrrev_b32_e32 v13, 16, v10
	s_delay_alu instid0(VALU_DEP_3)
	v_pack_b32_f16 v4, v14, v9
	s_wait_loadcnt 0x0
	v_lshrrev_b32_e32 v16, 16, v5
	ds_store_b32 v8, v1 offset:972
	ds_store_b32 v6, v4 offset:10692
	ds_load_b32 v1, v8 offset:1944
	ds_load_b32 v4, v6 offset:9720
	s_wait_dscnt 0x1
	v_lshrrev_b32_e32 v7, 16, v1
	s_wait_dscnt 0x0
	v_lshrrev_b32_e32 v9, 16, v4
	v_add_f16_e32 v14, v1, v4
	v_sub_f16_e32 v1, v1, v4
	s_delay_alu instid0(VALU_DEP_3) | instskip(SKIP_1) | instid1(VALU_DEP_3)
	v_add_f16_e32 v4, v9, v7
	v_sub_f16_e32 v7, v7, v9
	v_fma_f16 v9, v1, v13, v14
	v_fma_f16 v14, -v1, v13, v14
	s_delay_alu instid0(VALU_DEP_3) | instskip(SKIP_1) | instid1(VALU_DEP_4)
	v_fma_f16 v15, v4, v13, v7
	v_fma_f16 v7, v4, v13, -v7
	v_fma_f16 v9, -v10, v4, v9
	s_delay_alu instid0(VALU_DEP_4) | instskip(NEXT) | instid1(VALU_DEP_4)
	v_fmac_f16_e32 v14, v10, v4
	v_fmac_f16_e32 v15, v1, v10
	s_delay_alu instid0(VALU_DEP_4) | instskip(SKIP_1) | instid1(VALU_DEP_3)
	v_fmac_f16_e32 v7, v1, v10
	v_lshrrev_b32_e32 v10, 16, v11
	v_pack_b32_f16 v1, v9, v15
	s_delay_alu instid0(VALU_DEP_3)
	v_pack_b32_f16 v4, v14, v7
	ds_store_b32 v8, v1 offset:1944
	ds_store_b32 v6, v4 offset:9720
	ds_load_b32 v1, v8 offset:2916
	ds_load_b32 v4, v6 offset:8748
	s_wait_dscnt 0x1
	v_lshrrev_b32_e32 v7, 16, v1
	s_wait_dscnt 0x0
	v_lshrrev_b32_e32 v9, 16, v4
	v_add_f16_e32 v13, v1, v4
	v_sub_f16_e32 v1, v1, v4
	s_delay_alu instid0(VALU_DEP_3) | instskip(SKIP_1) | instid1(VALU_DEP_3)
	v_add_f16_e32 v4, v9, v7
	v_sub_f16_e32 v7, v7, v9
	v_fma_f16 v9, v1, v10, v13
	v_fma_f16 v13, -v1, v10, v13
	s_delay_alu instid0(VALU_DEP_3) | instskip(SKIP_1) | instid1(VALU_DEP_4)
	v_fma_f16 v14, v4, v10, v7
	v_fma_f16 v7, v4, v10, -v7
	v_fma_f16 v9, -v11, v4, v9
	s_delay_alu instid0(VALU_DEP_4) | instskip(SKIP_3) | instid1(VALU_DEP_2)
	v_fmac_f16_e32 v13, v11, v4
	v_lshrrev_b32_e32 v10, 16, v12
	v_fmac_f16_e32 v14, v1, v11
	v_fmac_f16_e32 v7, v1, v11
	v_pack_b32_f16 v1, v9, v14
	s_delay_alu instid0(VALU_DEP_2)
	v_pack_b32_f16 v4, v13, v7
	ds_store_b32 v8, v1 offset:2916
	ds_store_b32 v6, v4 offset:8748
	ds_load_b32 v1, v8 offset:3888
	ds_load_b32 v4, v6 offset:7776
	s_wait_dscnt 0x1
	v_lshrrev_b32_e32 v7, 16, v1
	s_wait_dscnt 0x0
	v_lshrrev_b32_e32 v9, 16, v4
	v_add_f16_e32 v11, v1, v4
	v_sub_f16_e32 v1, v1, v4
	s_delay_alu instid0(VALU_DEP_3) | instskip(SKIP_1) | instid1(VALU_DEP_3)
	v_add_f16_e32 v4, v9, v7
	v_sub_f16_e32 v7, v7, v9
	v_fma_f16 v9, v1, v10, v11
	v_fma_f16 v11, -v1, v10, v11
	s_delay_alu instid0(VALU_DEP_3) | instskip(SKIP_1) | instid1(VALU_DEP_4)
	v_fma_f16 v13, v4, v10, v7
	v_fma_f16 v7, v4, v10, -v7
	v_fma_f16 v9, -v12, v4, v9
	s_delay_alu instid0(VALU_DEP_4) | instskip(SKIP_3) | instid1(VALU_DEP_2)
	v_fmac_f16_e32 v11, v12, v4
	v_add_nc_u32_e32 v10, 0xf00, v8
	v_fmac_f16_e32 v13, v1, v12
	v_fmac_f16_e32 v7, v1, v12
	v_pack_b32_f16 v1, v9, v13
	s_delay_alu instid0(VALU_DEP_2)
	v_pack_b32_f16 v4, v11, v7
	ds_store_b32 v8, v1 offset:3888
	ds_store_b32 v6, v4 offset:7776
	ds_load_b32 v7, v8 offset:4860
	ds_load_b32 v11, v6 offset:6804
	v_and_b32_e32 v4, 0xff, v0
	v_add_nc_u32_e32 v13, 0xf3, v0
	v_add_nc_u32_e32 v9, 0x780, v8
	;; [unrolled: 1-line block ×3, first 2 shown]
	s_delay_alu instid0(VALU_DEP_4) | instskip(NEXT) | instid1(VALU_DEP_4)
	v_mul_lo_u16 v12, 0xab, v4
	v_and_b32_e32 v24, 0xffff, v13
	s_delay_alu instid0(VALU_DEP_2) | instskip(NEXT) | instid1(VALU_DEP_2)
	v_lshrrev_b16 v25, 10, v12
	v_mul_u32_u24_e32 v12, 0xaaab, v24
	v_mul_u32_u24_e32 v24, 0xe38f, v24
	s_delay_alu instid0(VALU_DEP_2)
	v_lshrrev_b32_e32 v26, 18, v12
	s_wait_dscnt 0x1
	v_lshrrev_b32_e32 v14, 16, v7
	s_wait_dscnt 0x0
	v_lshrrev_b32_e32 v15, 16, v11
	v_add_f16_e32 v17, v7, v11
	v_sub_f16_e32 v7, v7, v11
	s_delay_alu instid0(VALU_DEP_3) | instskip(SKIP_1) | instid1(VALU_DEP_3)
	v_add_f16_e32 v11, v15, v14
	v_sub_f16_e32 v14, v14, v15
	v_fma_f16 v15, v7, v16, v17
	v_fma_f16 v17, -v7, v16, v17
	s_delay_alu instid0(VALU_DEP_3) | instskip(SKIP_1) | instid1(VALU_DEP_4)
	v_fma_f16 v18, v11, v16, v14
	v_fma_f16 v14, v11, v16, -v14
	v_fma_f16 v12, -v5, v11, v15
	s_delay_alu instid0(VALU_DEP_4)
	v_fmac_f16_e32 v17, v5, v11
	v_add_nc_u32_e32 v11, 0x1e40, v8
	v_fmac_f16_e32 v18, v7, v5
	v_fmac_f16_e32 v14, v7, v5
	v_mul_lo_u16 v5, v25, 6
	v_mul_lo_u16 v7, v26, 6
	v_and_b32_e32 v25, 0xffff, v25
	v_pack_b32_f16 v15, v12, v18
	v_add_nc_u32_e32 v12, 0x25e0, v8
	v_sub_nc_u16 v22, v0, v5
	v_pack_b32_f16 v14, v17, v14
	ds_store_b32 v8, v15 offset:4860
	ds_store_b32 v6, v14 offset:6804
	global_wb scope:SCOPE_SE
	s_wait_dscnt 0x0
	s_barrier_signal -1
	s_barrier_wait -1
	global_inv scope:SCOPE_SE
	global_wb scope:SCOPE_SE
	s_barrier_signal -1
	s_barrier_wait -1
	global_inv scope:SCOPE_SE
	ds_load_2addr_b32 v[5:6], v8 offset1:243
	ds_load_2addr_b32 v[14:15], v9 offset0:6 offset1:249
	ds_load_2addr_b32 v[16:17], v10 offset0:12 offset1:255
	;; [unrolled: 1-line block ×4, first 2 shown]
	v_and_b32_e32 v27, 0xff, v22
	ds_load_2addr_b32 v[22:23], v12 offset0:6 offset1:249
	v_sub_nc_u16 v7, v13, v7
	global_wb scope:SCOPE_SE
	s_wait_dscnt 0x0
	s_barrier_signal -1
	v_mul_u32_u24_e32 v28, 5, v27
	s_barrier_wait -1
	v_and_b32_e32 v36, 0xffff, v7
	v_mad_u32_u24 v7, v0, 20, v8
	global_inv scope:SCOPE_SE
	v_lshlrev_b32_e32 v28, 2, v28
	v_lshlrev_b32_e32 v48, 2, v27
	v_mul_u32_u24_e32 v29, 5, v36
	v_add_nc_u32_e32 v30, 0x16c8, v7
	v_add_nc_u32_e32 v31, 0x16d0, v7
	;; [unrolled: 1-line block ×3, first 2 shown]
	v_lshlrev_b32_e32 v36, 2, v36
	v_pk_add_f16 v33, v5, v16
	v_pk_add_f16 v34, v14, v18
	;; [unrolled: 1-line block ×3, first 2 shown]
	v_pk_add_f16 v16, v16, v20 neg_lo:[0,1] neg_hi:[0,1]
	v_pk_add_f16 v37, v18, v22
	v_pk_add_f16 v38, v6, v17
	;; [unrolled: 1-line block ×3, first 2 shown]
	v_pk_add_f16 v17, v17, v21 neg_lo:[0,1] neg_hi:[0,1]
	v_pk_add_f16 v41, v19, v23
	v_pk_add_f16 v18, v18, v22 neg_lo:[0,1] neg_hi:[0,1]
	v_pk_fma_f16 v5, v35, 0.5, v5 op_sel_hi:[1,0,1] neg_lo:[1,0,0] neg_hi:[1,0,0]
	v_pk_mul_f16 v16, 0x3aee, v16 op_sel_hi:[0,1]
	v_pk_fma_f16 v14, v37, 0.5, v14 op_sel_hi:[1,0,1] neg_lo:[1,0,0] neg_hi:[1,0,0]
	v_pk_add_f16 v39, v15, v19
	v_pk_add_f16 v19, v19, v23 neg_lo:[0,1] neg_hi:[0,1]
	v_pk_add_f16 v20, v33, v20
	v_pk_add_f16 v22, v34, v22
	v_pk_fma_f16 v6, v40, 0.5, v6 op_sel_hi:[1,0,1] neg_lo:[1,0,0] neg_hi:[1,0,0]
	v_pk_mul_f16 v17, 0x3aee, v17 op_sel_hi:[0,1]
	v_pk_fma_f16 v15, v41, 0.5, v15 op_sel_hi:[1,0,1] neg_lo:[1,0,0] neg_hi:[1,0,0]
	v_pk_add_f16 v34, v5, v16 op_sel:[0,1] op_sel_hi:[1,0]
	v_pk_add_f16 v5, v5, v16 op_sel:[0,1] op_sel_hi:[1,0] neg_lo:[0,1] neg_hi:[0,1]
	v_pk_fma_f16 v16, 0x3aee, v18, v14 op_sel:[0,0,1] op_sel_hi:[0,1,0]
	v_pk_fma_f16 v14, 0x3aee, v18, v14 op_sel:[0,0,1] op_sel_hi:[0,1,0] neg_lo:[0,1,0] neg_hi:[0,1,0]
	v_pk_add_f16 v33, v20, v22
	v_pk_add_f16 v18, v20, v22 neg_lo:[0,1] neg_hi:[0,1]
	v_pk_add_f16 v22, v6, v17 op_sel:[0,1] op_sel_hi:[1,0]
	v_pk_add_f16 v6, v6, v17 op_sel:[0,1] op_sel_hi:[1,0] neg_lo:[0,1] neg_hi:[0,1]
	v_pk_fma_f16 v17, 0x3aee, v19, v15 op_sel:[0,0,1] op_sel_hi:[0,1,0]
	v_pk_fma_f16 v15, 0x3aee, v19, v15 op_sel:[0,0,1] op_sel_hi:[0,1,0] neg_lo:[0,1,0] neg_hi:[0,1,0]
	v_lshrrev_b32_e32 v35, 16, v16
	v_bfi_b32 v16, 0xffff, v16, v14
	v_mul_f16_e32 v37, 0x3aee, v14
	v_lshrrev_b32_e32 v41, 16, v17
	v_bfi_b32 v17, 0xffff, v17, v15
	v_mul_f16_e32 v42, 0x3aee, v15
	v_pk_add_f16 v21, v38, v21
	v_pk_add_f16 v23, v39, v23
	v_fmac_f16_e32 v37, 0.5, v35
	v_mul_f16_e32 v35, 0xbaee, v35
	v_pk_mul_f16 v44, v16, 0.5 op_sel_hi:[1,0]
	v_fmac_f16_e32 v42, 0.5, v41
	v_mul_f16_e32 v41, 0xbaee, v41
	v_pk_mul_f16 v45, v17, 0.5 op_sel_hi:[1,0]
	v_pk_add_f16 v20, v21, v23
	v_pk_add_f16 v19, v21, v23 neg_lo:[0,1] neg_hi:[0,1]
	v_bfi_b32 v23, 0xffff, v5, v34
	v_fmac_f16_e32 v35, 0.5, v14
	v_pk_fma_f16 v14, 0xbaee3aee, v16, v44 op_sel:[0,0,1] op_sel_hi:[1,1,0] neg_lo:[0,0,1] neg_hi:[0,0,1]
	v_lshrrev_b32_e32 v21, 16, v5
	v_lshrrev_b32_e32 v39, 16, v6
	v_fmac_f16_e32 v41, 0.5, v15
	v_pk_fma_f16 v15, 0xbaee3aee, v17, v45 op_sel:[0,0,1] op_sel_hi:[1,1,0] neg_lo:[0,0,1] neg_hi:[0,0,1]
	v_lshrrev_b32_e32 v38, 16, v34
	v_bfi_b32 v40, 0xffff, v6, v22
	v_lshrrev_b32_e32 v43, 16, v22
	v_add_f16_e32 v46, v34, v37
	v_sub_f16_e32 v16, v34, v37
	v_add_f16_e32 v34, v22, v42
	v_sub_f16_e32 v17, v22, v42
	v_pk_add_f16 v22, v23, v14
	v_lshrrev_b32_e32 v23, 16, v14
	v_pack_b32_f16 v14, v35, v14
	v_add_f16_e32 v21, v21, v35
	v_add_f16_e32 v35, v39, v41
	v_lshrrev_b32_e32 v37, 16, v15
	v_pack_b32_f16 v39, v41, v15
	v_sub_f16_e32 v23, v38, v23
	v_pk_add_f16 v5, v5, v14 op_sel:[1,0] op_sel_hi:[0,1] neg_lo:[0,1] neg_hi:[0,1]
	v_pack_b32_f16 v21, v46, v21
	v_sub_f16_e32 v14, v43, v37
	v_pk_add_f16 v6, v6, v39 op_sel:[1,0] op_sel_hi:[0,1] neg_lo:[0,1] neg_hi:[0,1]
	v_lshlrev_b32_e32 v29, 2, v29
	v_alignbit_b32 v23, v23, v5, 16
	v_pack_b32_f16 v5, v16, v5
	v_pack_b32_f16 v34, v34, v35
	v_pk_add_f16 v15, v40, v15
	v_alignbit_b32 v14, v14, v6, 16
	v_pack_b32_f16 v6, v17, v6
	ds_store_2addr_b32 v7, v33, v21 offset1:1
	ds_store_2addr_b32 v7, v22, v18 offset0:2 offset1:3
	ds_store_2addr_b32 v7, v5, v23 offset0:4 offset1:5
	ds_store_2addr_b32 v30, v20, v34 offset1:1
	ds_store_2addr_b32 v31, v15, v19 offset1:1
	;; [unrolled: 1-line block ×3, first 2 shown]
	global_wb scope:SCOPE_SE
	s_wait_dscnt 0x0
	s_barrier_signal -1
	s_barrier_wait -1
	global_inv scope:SCOPE_SE
	s_clause 0x3
	global_load_b128 v[16:19], v28, s[4:5]
	global_load_b32 v5, v28, s[4:5] offset:16
	global_load_b128 v[20:23], v29, s[4:5]
	global_load_b32 v37, v29, s[4:5] offset:16
	v_add_nc_u32_e32 v15, 0x1e6, v0
	v_add_nc_u32_e32 v14, 0x2d9, v0
	v_mul_lo_u16 v28, v4, 57
	v_lshrrev_b32_e32 v39, 21, v24
	v_mul_u32_u24_e32 v42, 0x90, v25
	v_and_b32_e32 v6, 0xffff, v15
	v_and_b32_e32 v7, 0xffff, v14
	v_lshrrev_b16 v38, 11, v28
	v_mul_lo_u16 v25, v39, 36
	v_mul_u32_u24_e32 v43, 0x90, v26
	v_mul_u32_u24_e32 v28, 0xe38f, v6
	;; [unrolled: 1-line block ×3, first 2 shown]
	v_mul_lo_u16 v30, v38, 36
	v_sub_nc_u16 v45, v13, v25
	v_add3_u32 v36, 0, v43, v36
	v_lshrrev_b32_e32 v40, 21, v28
	v_lshrrev_b32_e32 v41, 21, v29
	v_sub_nc_u16 v24, v0, v30
	v_and_b32_e32 v45, 0xffff, v45
	v_add3_u32 v42, 0, v42, v48
	v_mul_lo_u16 v28, v40, 36
	v_mul_lo_u16 v29, v41, 36
	v_and_b32_e32 v44, 0xff, v24
	ds_load_2addr_b32 v[24:25], v8 offset1:243
	v_lshlrev_b32_e32 v48, 3, v45
	v_sub_nc_u16 v46, v15, v28
	v_sub_nc_u16 v47, v14, v29
	ds_load_2addr_b32 v[26:27], v9 offset0:6 offset1:249
	ds_load_2addr_b32 v[28:29], v10 offset0:12 offset1:255
	;; [unrolled: 1-line block ×5, first 2 shown]
	v_lshlrev_b32_e32 v49, 3, v44
	global_wb scope:SCOPE_SE
	s_wait_loadcnt_dscnt 0x0
	v_and_b32_e32 v46, 0xffff, v46
	v_and_b32_e32 v47, 0xffff, v47
	s_barrier_signal -1
	s_barrier_wait -1
	global_inv scope:SCOPE_SE
	v_lshlrev_b32_e32 v50, 3, v46
	v_mul_lo_u16 v4, v4, 19
	v_lshlrev_b32_e32 v45, 2, v45
	v_lshlrev_b32_e32 v46, 2, v46
	v_mul_u32_u24_e32 v6, 0x6523, v6
	v_mul_u32_u24_e32 v7, 0x6523, v7
	v_lshrrev_b32_e32 v57, 16, v26
	v_lshrrev_b32_e32 v58, 16, v28
	;; [unrolled: 1-line block ×22, first 2 shown]
	v_mul_f16_e32 v72, v62, v57
	v_mul_f16_e32 v62, v62, v26
	;; [unrolled: 1-line block ×20, first 2 shown]
	v_fma_f16 v26, v16, v26, -v72
	v_fmac_f16_e32 v62, v16, v57
	v_fma_f16 v16, v17, v28, -v73
	v_fmac_f16_e32 v63, v17, v58
	;; [unrolled: 2-line block ×10, first 2 shown]
	v_add_f16_e32 v28, v16, v18
	v_add_f16_e32 v31, v63, v65
	;; [unrolled: 1-line block ×11, first 2 shown]
	v_sub_f16_e32 v29, v63, v65
	v_sub_f16_e32 v16, v16, v18
	;; [unrolled: 1-line block ×4, first 2 shown]
	v_add_f16_e32 v52, v25, v20
	v_add_f16_e32 v55, v51, v68
	;; [unrolled: 1-line block ×4, first 2 shown]
	v_fma_f16 v24, -0.5, v28, v24
	v_fmac_f16_e32 v43, -0.5, v31
	v_fmac_f16_e32 v26, -0.5, v33
	;; [unrolled: 1-line block ×3, first 2 shown]
	v_add_f16_e32 v53, v20, v22
	v_sub_f16_e32 v20, v20, v22
	v_sub_f16_e32 v59, v69, v71
	;; [unrolled: 1-line block ×3, first 2 shown]
	v_add_f16_e32 v18, v27, v18
	v_add_f16_e32 v27, v30, v65
	v_add_f16_e32 v19, v32, v19
	v_add_f16_e32 v28, v35, v66
	v_fmac_f16_e32 v51, -0.5, v56
	v_fmac_f16_e32 v5, -0.5, v58
	;; [unrolled: 1-line block ×3, first 2 shown]
	v_add_f16_e32 v22, v52, v22
	v_add_f16_e32 v30, v55, v70
	;; [unrolled: 1-line block ×4, first 2 shown]
	v_fmamk_f16 v32, v29, 0x3aee, v24
	v_fmac_f16_e32 v24, 0xbaee, v29
	v_fmamk_f16 v29, v16, 0xbaee, v43
	v_fmac_f16_e32 v43, 0x3aee, v16
	v_fmamk_f16 v16, v34, 0x3aee, v26
	v_fmamk_f16 v33, v17, 0xbaee, v62
	v_fmac_f16_e32 v26, 0xbaee, v34
	v_fmac_f16_e32 v62, 0x3aee, v17
	v_sub_f16_e32 v54, v68, v70
	v_fmac_f16_e32 v25, -0.5, v53
	v_add_f16_e32 v17, v18, v19
	v_add_f16_e32 v34, v27, v28
	v_sub_f16_e32 v18, v18, v19
	v_sub_f16_e32 v19, v27, v28
	v_fmamk_f16 v28, v20, 0xbaee, v51
	v_fmac_f16_e32 v51, 0x3aee, v20
	v_fmamk_f16 v20, v59, 0x3aee, v5
	v_fmamk_f16 v35, v21, 0xbaee, v67
	v_fmac_f16_e32 v5, 0xbaee, v59
	v_fmac_f16_e32 v67, 0x3aee, v21
	v_add_f16_e32 v21, v22, v23
	v_add_f16_e32 v37, v30, v31
	v_sub_f16_e32 v22, v22, v23
	v_sub_f16_e32 v23, v30, v31
	v_mul_f16_e32 v30, 0x3aee, v33
	v_mul_f16_e32 v52, 0xbaee, v16
	v_mul_f16_e32 v31, -0.5, v26
	v_mul_f16_e32 v53, -0.5, v62
	v_fmamk_f16 v27, v54, 0x3aee, v25
	v_fmac_f16_e32 v25, 0xbaee, v54
	v_mul_f16_e32 v54, 0x3aee, v35
	v_mul_f16_e32 v56, 0xbaee, v20
	v_mul_f16_e32 v55, -0.5, v5
	v_mul_f16_e32 v57, -0.5, v67
	v_fmac_f16_e32 v30, 0.5, v16
	v_fmac_f16_e32 v52, 0.5, v33
	v_fmac_f16_e32 v31, 0x3aee, v62
	v_fmac_f16_e32 v53, 0xbaee, v26
	v_fmac_f16_e32 v54, 0.5, v20
	v_fmac_f16_e32 v56, 0.5, v35
	v_fmac_f16_e32 v55, 0x3aee, v67
	v_fmac_f16_e32 v57, 0xbaee, v5
	v_add_f16_e32 v5, v32, v30
	v_add_f16_e32 v20, v29, v52
	v_pack_b32_f16 v18, v18, v19
	v_pack_b32_f16 v19, v21, v37
	;; [unrolled: 1-line block ×3, first 2 shown]
	v_add_f16_e32 v16, v24, v31
	v_add_f16_e32 v22, v43, v53
	v_sub_f16_e32 v23, v32, v30
	v_sub_f16_e32 v24, v24, v31
	;; [unrolled: 1-line block ×4, first 2 shown]
	v_add_f16_e32 v30, v27, v54
	v_add_f16_e32 v32, v28, v56
	;; [unrolled: 1-line block ×4, first 2 shown]
	v_pack_b32_f16 v17, v17, v34
	v_sub_f16_e32 v27, v27, v54
	v_sub_f16_e32 v25, v25, v55
	;; [unrolled: 1-line block ×4, first 2 shown]
	v_pack_b32_f16 v5, v5, v20
	v_pack_b32_f16 v16, v16, v22
	;; [unrolled: 1-line block ×8, first 2 shown]
	ds_store_2addr_b32 v42, v17, v5 offset1:6
	ds_store_2addr_b32 v42, v16, v18 offset0:12 offset1:18
	ds_store_2addr_b32 v42, v20, v22 offset0:24 offset1:30
	ds_store_2addr_b32 v36, v19, v23 offset1:6
	ds_store_2addr_b32 v36, v24, v21 offset0:12 offset1:18
	ds_store_2addr_b32 v36, v26, v25 offset0:24 offset1:30
	global_wb scope:SCOPE_SE
	s_wait_dscnt 0x0
	s_barrier_signal -1
	s_barrier_wait -1
	global_inv scope:SCOPE_SE
	global_load_b64 v[16:17], v49, s[4:5] offset:120
	v_lshlrev_b32_e32 v5, 3, v47
	s_clause 0x2
	global_load_b64 v[18:19], v48, s[4:5] offset:120
	global_load_b64 v[20:21], v50, s[4:5] offset:120
	;; [unrolled: 1-line block ×3, first 2 shown]
	v_lshrrev_b16 v5, 2, v13
	v_lshrrev_b16 v24, 2, v15
	;; [unrolled: 1-line block ×4, first 2 shown]
	v_mul_u32_u24_e32 v35, 0x1b0, v39
	v_and_b32_e32 v4, 0xffff, v5
	v_and_b32_e32 v5, 0xffff, v24
	;; [unrolled: 1-line block ×3, first 2 shown]
	v_mul_lo_u16 v26, 0x6c, v34
	v_and_b32_e32 v25, 0xffff, v38
	v_mul_u32_u24_e32 v4, 0x4bdb, v4
	v_mul_u32_u24_e32 v5, 0x4bdb, v5
	;; [unrolled: 1-line block ×3, first 2 shown]
	v_sub_nc_u16 v26, v0, v26
	v_mul_u32_u24_e32 v25, 0x1b0, v25
	v_lshrrev_b32_e32 v37, 19, v4
	v_lshrrev_b32_e32 v38, 19, v5
	;; [unrolled: 1-line block ×3, first 2 shown]
	v_mul_u32_u24_e32 v36, 0x1b0, v40
	v_mul_u32_u24_e32 v40, 0x1b0, v41
	v_mul_lo_u16 v4, 0x6c, v37
	v_and_b32_e32 v41, 0xff, v26
	v_mul_lo_u16 v5, 0x6c, v38
	v_mul_lo_u16 v24, 0x6c, v39
	v_lshlrev_b32_e32 v26, 2, v44
	v_sub_nc_u16 v30, v13, v4
	v_lshlrev_b32_e32 v47, 2, v47
	v_sub_nc_u16 v43, v15, v5
	v_sub_nc_u16 v44, v14, v24
	v_add3_u32 v48, 0, v25, v26
	ds_load_2addr_b32 v[4:5], v8 offset1:243
	ds_load_2addr_b32 v[24:25], v9 offset0:6 offset1:249
	ds_load_2addr_b32 v[26:27], v12 offset0:6 offset1:249
	;; [unrolled: 1-line block ×3, first 2 shown]
	v_and_b32_e32 v49, 0xffff, v30
	ds_load_2addr_b32 v[30:31], v10 offset0:12 offset1:255
	ds_load_2addr_b32 v[32:33], v11 offset0:8 offset1:251
	v_add3_u32 v40, 0, v40, v47
	v_lshlrev_b32_e32 v42, 3, v41
	v_and_b32_e32 v43, 0xffff, v43
	v_and_b32_e32 v44, 0xffff, v44
	v_add3_u32 v35, 0, v35, v45
	v_add3_u32 v36, 0, v36, v46
	v_lshlrev_b32_e32 v45, 3, v49
	v_lshlrev_b32_e32 v46, 3, v43
	global_wb scope:SCOPE_SE
	s_wait_loadcnt_dscnt 0x0
	s_barrier_signal -1
	s_barrier_wait -1
	global_inv scope:SCOPE_SE
	v_mul_u32_u24_e32 v38, 0x510, v38
	v_mul_u32_u24_e32 v39, 0x510, v39
	v_lshlrev_b32_e32 v43, 2, v43
	v_lshrrev_b32_e32 v47, 16, v4
	v_lshrrev_b32_e32 v52, 16, v26
	;; [unrolled: 1-line block ×12, first 2 shown]
	v_add3_u32 v38, 0, v38, v43
	v_lshlrev_b32_e32 v41, 2, v41
	v_lshrrev_b32_e32 v61, 16, v16
	v_lshrrev_b32_e32 v62, 16, v17
	;; [unrolled: 1-line block ×8, first 2 shown]
	v_mul_f16_e32 v69, v61, v56
	v_mul_f16_e32 v61, v61, v30
	;; [unrolled: 1-line block ×16, first 2 shown]
	v_fma_f16 v30, v16, v30, -v69
	v_fmac_f16_e32 v61, v16, v56
	v_fma_f16 v16, v17, v32, -v70
	v_fmac_f16_e32 v62, v17, v57
	;; [unrolled: 2-line block ×8, first 2 shown]
	v_add_f16_e32 v26, v30, v16
	v_add_f16_e32 v29, v61, v62
	;; [unrolled: 1-line block ×7, first 2 shown]
	v_sub_f16_e32 v27, v61, v62
	v_add_f16_e32 v28, v47, v61
	v_sub_f16_e32 v30, v30, v16
	v_add_f16_e32 v31, v5, v17
	;; [unrolled: 2-line block ×4, first 2 shown]
	v_add_f16_e32 v60, v25, v21
	v_add_f16_e32 v61, v21, v22
	v_sub_f16_e32 v63, v67, v68
	v_add_f16_e32 v65, v53, v67
	v_add_f16_e32 v67, v67, v68
	v_fma_f16 v4, -0.5, v26, v4
	v_fmac_f16_e32 v47, -0.5, v29
	v_sub_f16_e32 v17, v17, v18
	v_fmac_f16_e32 v5, -0.5, v32
	v_fmac_f16_e32 v50, -0.5, v54
	v_add_f16_e32 v55, v24, v19
	v_sub_f16_e32 v19, v19, v20
	v_fma_f16 v24, -0.5, v56, v24
	v_fmac_f16_e32 v51, -0.5, v59
	v_sub_f16_e32 v21, v21, v22
	v_add_f16_e32 v16, v23, v16
	v_add_f16_e32 v23, v28, v62
	;; [unrolled: 1-line block ×4, first 2 shown]
	v_fmac_f16_e32 v25, -0.5, v61
	v_add_f16_e32 v29, v65, v68
	v_fmac_f16_e32 v53, -0.5, v67
	v_fmamk_f16 v31, v27, 0x3aee, v4
	v_fmac_f16_e32 v4, 0xbaee, v27
	v_fmamk_f16 v27, v30, 0xbaee, v47
	v_fmac_f16_e32 v47, 0x3aee, v30
	v_add_f16_e32 v26, v52, v64
	v_fmamk_f16 v30, v33, 0x3aee, v5
	v_fmamk_f16 v32, v17, 0xbaee, v50
	v_fmac_f16_e32 v5, 0xbaee, v33
	v_fmac_f16_e32 v50, 0x3aee, v17
	v_add_f16_e32 v20, v55, v20
	v_add_f16_e32 v28, v58, v66
	v_fmamk_f16 v17, v57, 0x3aee, v24
	v_fmamk_f16 v33, v19, 0xbaee, v51
	v_fmac_f16_e32 v24, 0xbaee, v57
	v_fmac_f16_e32 v51, 0x3aee, v19
	v_fmamk_f16 v19, v63, 0x3aee, v25
	v_fmac_f16_e32 v25, 0xbaee, v63
	v_fmamk_f16 v52, v21, 0xbaee, v53
	v_fmac_f16_e32 v53, 0x3aee, v21
	v_pack_b32_f16 v16, v16, v23
	v_pack_b32_f16 v21, v22, v29
	;; [unrolled: 1-line block ×12, first 2 shown]
	ds_store_2addr_b32 v48, v16, v22 offset1:36
	ds_store_b32 v48, v4 offset:288
	ds_store_2addr_b32 v35, v18, v23 offset1:36
	ds_store_b32 v35, v5 offset:288
	ds_store_2addr_b32 v36, v20, v17 offset1:36
	ds_store_b32 v36, v24 offset:288
	ds_store_2addr_b32 v40, v21, v19 offset1:36
	ds_store_b32 v40, v25 offset:288
	v_mov_b32_e32 v5, 0
	global_wb scope:SCOPE_SE
	s_wait_dscnt 0x0
	s_barrier_signal -1
	s_barrier_wait -1
	global_inv scope:SCOPE_SE
	global_load_b64 v[16:17], v42, s[4:5] offset:408
	v_lshlrev_b32_e32 v4, 3, v44
	s_clause 0x2
	global_load_b64 v[18:19], v45, s[4:5] offset:408
	global_load_b64 v[20:21], v46, s[4:5] offset:408
	global_load_b64 v[22:23], v4, s[4:5] offset:408
	v_add_nc_u32_e32 v24, 0xffffffaf, v0
	v_lshlrev_b32_e32 v4, 1, v0
	v_and_b32_e32 v28, 0xffff, v34
	v_lshrrev_b32_e32 v42, 23, v6
	v_mul_u32_u24_e32 v46, 0x510, v37
	s_wait_alu 0xf1ff
	v_cndmask_b32_e64 v40, v24, v13, s0
	v_lshlrev_b64_e32 v[24:25], 2, v[4:5]
	v_mul_u32_u24_e32 v45, 0x510, v28
	v_mul_lo_u16 v28, 0x144, v42
	v_lshlrev_b32_e32 v44, 2, v44
	v_lshlrev_b32_e32 v4, 1, v40
	v_add_co_u32 v6, s0, s4, v24
	s_delay_alu instid0(VALU_DEP_4) | instskip(NEXT) | instid1(VALU_DEP_3)
	v_sub_nc_u16 v28, v15, v28
	v_lshlrev_b64_e32 v[26:27], 2, v[4:5]
	v_lshrrev_b32_e32 v4, 23, v7
	s_wait_alu 0xf1ff
	v_add_co_ci_u32_e64 v7, s0, s5, v25, s0
	v_and_b32_e32 v47, 0xffff, v28
	v_add3_u32 v39, 0, v39, v44
	v_add_co_u32 v24, s0, s4, v26
	s_wait_alu 0xf1ff
	v_add_co_ci_u32_e64 v25, s0, s5, v27, s0
	ds_load_2addr_b32 v[26:27], v8 offset1:243
	ds_load_2addr_b32 v[28:29], v9 offset0:6 offset1:249
	ds_load_2addr_b32 v[30:31], v12 offset0:6 offset1:249
	ds_load_2addr_b32 v[32:33], v1 offset0:2 offset1:245
	ds_load_2addr_b32 v[34:35], v10 offset0:12 offset1:255
	ds_load_2addr_b32 v[36:37], v11 offset0:8 offset1:251
	v_mul_lo_u16 v4, 0x144, v4
	v_add3_u32 v41, 0, v45, v41
	v_lshlrev_b32_e32 v45, 3, v47
	global_wb scope:SCOPE_SE
	s_wait_loadcnt_dscnt 0x0
	s_barrier_signal -1
	v_sub_nc_u16 v4, v14, v4
	s_barrier_wait -1
	global_inv scope:SCOPE_SE
	v_cmp_lt_u32_e64 s0, 0x50, v0
	v_and_b32_e32 v48, 0xffff, v4
	v_lshlrev_b32_e32 v4, 2, v49
	s_delay_alu instid0(VALU_DEP_1)
	v_add3_u32 v4, 0, v46, v4
	v_lshrrev_b32_e32 v49, 16, v30
	v_lshrrev_b32_e32 v53, 16, v34
	;; [unrolled: 1-line block ×20, first 2 shown]
	v_mul_f16_e32 v66, v58, v53
	v_mul_f16_e32 v58, v58, v34
	;; [unrolled: 1-line block ×16, first 2 shown]
	v_fma_f16 v34, v16, v34, -v66
	v_fmac_f16_e32 v58, v16, v53
	v_fma_f16 v16, v17, v36, -v67
	v_fmac_f16_e32 v59, v17, v54
	;; [unrolled: 2-line block ×8, first 2 shown]
	v_add_f16_e32 v23, v26, v34
	v_add_f16_e32 v30, v34, v16
	;; [unrolled: 1-line block ×7, first 2 shown]
	v_sub_f16_e32 v31, v58, v59
	v_add_f16_e32 v32, v43, v58
	v_sub_f16_e32 v34, v34, v16
	v_add_f16_e32 v35, v27, v17
	;; [unrolled: 2-line block ×4, first 2 shown]
	v_add_f16_e32 v57, v29, v21
	v_add_f16_e32 v58, v21, v22
	v_sub_f16_e32 v60, v64, v65
	v_add_f16_e32 v62, v50, v64
	v_add_f16_e32 v64, v64, v65
	;; [unrolled: 1-line block ×3, first 2 shown]
	v_fma_f16 v23, -0.5, v30, v26
	v_fmac_f16_e32 v43, -0.5, v33
	v_sub_f16_e32 v17, v17, v18
	v_fmac_f16_e32 v27, -0.5, v36
	v_fmac_f16_e32 v44, -0.5, v51
	v_add_f16_e32 v52, v28, v19
	v_sub_f16_e32 v19, v19, v20
	v_fma_f16 v28, -0.5, v53, v28
	v_fmac_f16_e32 v46, -0.5, v56
	v_sub_f16_e32 v21, v21, v22
	v_add_f16_e32 v26, v32, v59
	v_add_f16_e32 v18, v35, v18
	;; [unrolled: 1-line block ×3, first 2 shown]
	v_fmac_f16_e32 v29, -0.5, v58
	v_add_f16_e32 v33, v62, v65
	v_fmac_f16_e32 v50, -0.5, v64
	v_fmamk_f16 v35, v31, 0x3aee, v23
	v_fmac_f16_e32 v23, 0xbaee, v31
	v_fmamk_f16 v31, v34, 0xbaee, v43
	v_fmac_f16_e32 v43, 0x3aee, v34
	v_add_f16_e32 v30, v49, v61
	v_fmamk_f16 v34, v37, 0x3aee, v27
	v_fmamk_f16 v36, v17, 0xbaee, v44
	v_fmac_f16_e32 v27, 0xbaee, v37
	v_fmac_f16_e32 v44, 0x3aee, v17
	v_add_f16_e32 v20, v52, v20
	v_add_f16_e32 v32, v55, v63
	v_fmamk_f16 v17, v54, 0x3aee, v28
	v_fmamk_f16 v37, v19, 0xbaee, v46
	v_fmac_f16_e32 v28, 0xbaee, v54
	v_fmac_f16_e32 v46, 0x3aee, v19
	v_fmamk_f16 v19, v60, 0x3aee, v29
	v_fmac_f16_e32 v29, 0xbaee, v60
	v_fmamk_f16 v49, v21, 0xbaee, v50
	v_fmac_f16_e32 v50, 0x3aee, v21
	v_pack_b32_f16 v16, v16, v26
	v_pack_b32_f16 v21, v22, v33
	v_pack_b32_f16 v22, v35, v31
	v_pack_b32_f16 v23, v23, v43
	v_pack_b32_f16 v18, v18, v30
	v_pack_b32_f16 v26, v34, v36
	v_pack_b32_f16 v27, v27, v44
	v_pack_b32_f16 v20, v20, v32
	v_pack_b32_f16 v17, v17, v37
	v_pack_b32_f16 v28, v28, v46
	v_pack_b32_f16 v19, v19, v49
	v_pack_b32_f16 v29, v29, v50
	ds_store_2addr_b32 v41, v16, v22 offset1:108
	ds_store_b32 v41, v23 offset:864
	ds_store_2addr_b32 v4, v18, v26 offset1:108
	ds_store_b32 v4, v27 offset:864
	ds_store_2addr_b32 v38, v20, v17 offset1:108
	ds_store_b32 v38, v28 offset:864
	ds_store_2addr_b32 v39, v21, v19 offset1:108
	ds_store_b32 v39, v29 offset:864
	global_wb scope:SCOPE_SE
	s_wait_dscnt 0x0
	s_barrier_signal -1
	s_barrier_wait -1
	global_inv scope:SCOPE_SE
	global_load_b64 v[16:17], v[6:7], off offset:1272
	v_lshlrev_b32_e32 v4, 3, v48
	s_clause 0x2
	global_load_b64 v[18:19], v[24:25], off offset:1272
	global_load_b64 v[20:21], v45, s[4:5] offset:1272
	global_load_b64 v[22:23], v4, s[4:5] offset:1272
	v_lshlrev_b32_e32 v4, 1, v13
	s_wait_alu 0xf1ff
	v_cndmask_b32_e64 v13, 0, 0xf30, s0
	v_lshlrev_b32_e32 v26, 2, v40
	v_lshl_add_u32 v41, v48, 2, 0
	v_mul_u32_u24_e32 v40, 0xf30, v42
	v_lshlrev_b64_e32 v[24:25], 2, v[4:5]
	v_lshlrev_b32_e32 v4, 1, v15
	v_add3_u32 v15, 0, v13, v26
	s_delay_alu instid0(VALU_DEP_2)
	v_lshlrev_b64_e32 v[26:27], 2, v[4:5]
	v_lshlrev_b32_e32 v4, 1, v14
	ds_load_2addr_b32 v[13:14], v8 offset1:243
	ds_load_2addr_b32 v[28:29], v9 offset0:6 offset1:249
	ds_load_2addr_b32 v[30:31], v12 offset0:6 offset1:249
	ds_load_2addr_b32 v[32:33], v1 offset0:2 offset1:245
	ds_load_2addr_b32 v[36:37], v10 offset0:12 offset1:255
	ds_load_2addr_b32 v[38:39], v11 offset0:8 offset1:251
	v_add_co_u32 v24, s0, s4, v24
	v_lshlrev_b64_e32 v[34:35], 2, v[4:5]
	v_lshlrev_b32_e32 v4, 2, v47
	s_wait_alu 0xf1ff
	v_add_co_ci_u32_e64 v25, s0, s5, v25, s0
	v_add_co_u32 v26, s0, s4, v26
	s_delay_alu instid0(VALU_DEP_3)
	v_add3_u32 v4, 0, v40, v4
	s_wait_alu 0xf1ff
	v_add_co_ci_u32_e64 v27, s0, s5, v27, s0
	global_wb scope:SCOPE_SE
	s_wait_loadcnt_dscnt 0x0
	s_barrier_signal -1
	s_barrier_wait -1
	global_inv scope:SCOPE_SE
	v_lshrrev_b32_e32 v40, 16, v13
	v_lshrrev_b32_e32 v42, 16, v14
	;; [unrolled: 1-line block ×20, first 2 shown]
	v_mul_f16_e32 v61, v53, v48
	v_mul_f16_e32 v53, v53, v36
	v_mul_f16_e32 v62, v54, v49
	v_mul_f16_e32 v54, v54, v38
	v_mul_f16_e32 v63, v55, v50
	v_mul_f16_e32 v55, v55, v37
	v_mul_f16_e32 v64, v56, v51
	v_mul_f16_e32 v56, v56, v39
	v_mul_f16_e32 v65, v57, v52
	v_mul_f16_e32 v57, v57, v32
	v_mul_f16_e32 v66, v44, v58
	v_mul_f16_e32 v58, v30, v58
	v_mul_f16_e32 v67, v46, v59
	v_mul_f16_e32 v59, v33, v59
	v_mul_f16_e32 v68, v47, v60
	v_mul_f16_e32 v60, v31, v60
	v_fma_f16 v36, v16, v36, -v61
	v_fmac_f16_e32 v53, v16, v48
	v_fma_f16 v16, v17, v38, -v62
	v_fmac_f16_e32 v54, v17, v49
	;; [unrolled: 2-line block ×8, first 2 shown]
	v_add_f16_e32 v30, v36, v16
	v_add_f16_e32 v33, v53, v54
	;; [unrolled: 1-line block ×5, first 2 shown]
	v_sub_f16_e32 v31, v53, v54
	v_add_f16_e32 v32, v40, v53
	v_sub_f16_e32 v39, v55, v56
	v_add_f16_e32 v44, v42, v55
	v_add_f16_e32 v48, v19, v20
	v_sub_f16_e32 v49, v57, v58
	v_add_f16_e32 v50, v43, v57
	v_add_f16_e32 v51, v57, v58
	;; [unrolled: 1-line block ×3, first 2 shown]
	v_sub_f16_e32 v55, v59, v60
	v_add_f16_e32 v57, v45, v59
	v_add_f16_e32 v59, v59, v60
	v_sub_f16_e32 v36, v36, v16
	v_add_f16_e32 v37, v14, v17
	v_add_f16_e32 v52, v29, v21
	v_fma_f16 v13, -0.5, v30, v13
	v_fmac_f16_e32 v40, -0.5, v33
	v_sub_f16_e32 v17, v17, v18
	v_fmac_f16_e32 v14, -0.5, v38
	v_fmac_f16_e32 v42, -0.5, v46
	v_add_f16_e32 v47, v28, v19
	v_sub_f16_e32 v19, v19, v20
	v_sub_f16_e32 v21, v21, v22
	v_add_f16_e32 v16, v23, v16
	v_add_f16_e32 v23, v32, v54
	v_fma_f16 v28, -0.5, v48, v28
	v_fmac_f16_e32 v43, -0.5, v51
	v_fmac_f16_e32 v29, -0.5, v53
	;; [unrolled: 1-line block ×3, first 2 shown]
	v_add_f16_e32 v18, v37, v18
	v_add_f16_e32 v22, v52, v22
	;; [unrolled: 1-line block ×3, first 2 shown]
	v_fmamk_f16 v37, v31, 0x3aee, v13
	v_fmac_f16_e32 v13, 0xbaee, v31
	v_fmamk_f16 v31, v36, 0xbaee, v40
	v_fmac_f16_e32 v40, 0x3aee, v36
	v_add_f16_e32 v30, v44, v56
	v_fmamk_f16 v36, v39, 0x3aee, v14
	v_fmamk_f16 v38, v17, 0xbaee, v42
	v_add_f16_e32 v20, v47, v20
	v_add_f16_e32 v32, v50, v58
	v_fmac_f16_e32 v14, 0xbaee, v39
	v_fmac_f16_e32 v42, 0x3aee, v17
	v_fmamk_f16 v17, v49, 0x3aee, v28
	v_fmac_f16_e32 v28, 0xbaee, v49
	v_fmamk_f16 v39, v19, 0xbaee, v43
	;; [unrolled: 2-line block ×4, first 2 shown]
	v_fmac_f16_e32 v45, 0x3aee, v21
	v_pack_b32_f16 v16, v16, v23
	v_pack_b32_f16 v21, v22, v33
	;; [unrolled: 1-line block ×12, first 2 shown]
	ds_store_b32 v8, v16
	ds_store_b32 v8, v22 offset:1296
	ds_store_b32 v8, v13 offset:2592
	ds_store_b32 v15, v18
	ds_store_b32 v15, v23 offset:1296
	ds_store_b32 v15, v14 offset:2592
	;; [unrolled: 3-line block ×3, first 2 shown]
	ds_store_b32 v41, v21 offset:7776
	ds_store_b32 v41, v19 offset:9072
	;; [unrolled: 1-line block ×3, first 2 shown]
	v_add_co_u32 v13, s0, s4, v34
	s_wait_alu 0xf1ff
	v_add_co_ci_u32_e64 v14, s0, s5, v35, s0
	global_wb scope:SCOPE_SE
	s_wait_dscnt 0x0
	s_barrier_signal -1
	s_barrier_wait -1
	global_inv scope:SCOPE_SE
	s_clause 0x3
	global_load_b64 v[6:7], v[6:7], off offset:3864
	global_load_b64 v[15:16], v[24:25], off offset:3864
	;; [unrolled: 1-line block ×4, first 2 shown]
	ds_load_2addr_b32 v[19:20], v8 offset1:243
	ds_load_2addr_b32 v[21:22], v9 offset0:6 offset1:249
	ds_load_2addr_b32 v[23:24], v12 offset0:6 offset1:249
	;; [unrolled: 1-line block ×5, first 2 shown]
	global_wb scope:SCOPE_SE
	s_wait_loadcnt_dscnt 0x0
	s_barrier_signal -1
	s_barrier_wait -1
	global_inv scope:SCOPE_SE
	v_lshrrev_b32_e32 v4, 16, v19
	v_lshrrev_b32_e32 v31, 16, v20
	;; [unrolled: 1-line block ×20, first 2 shown]
	v_mul_f16_e32 v50, v42, v37
	v_mul_f16_e32 v42, v42, v27
	;; [unrolled: 1-line block ×16, first 2 shown]
	v_fma_f16 v27, v6, v27, -v50
	v_fmac_f16_e32 v42, v6, v37
	v_fma_f16 v6, v7, v29, -v51
	v_fmac_f16_e32 v43, v7, v38
	;; [unrolled: 2-line block ×8, first 2 shown]
	v_add_f16_e32 v14, v19, v27
	v_add_f16_e32 v23, v27, v6
	;; [unrolled: 1-line block ×8, first 2 shown]
	v_sub_f16_e32 v24, v42, v43
	v_sub_f16_e32 v30, v44, v45
	v_add_f16_e32 v37, v16, v17
	v_sub_f16_e32 v38, v46, v47
	v_add_f16_e32 v39, v32, v46
	v_add_f16_e32 v40, v46, v47
	;; [unrolled: 1-line block ×3, first 2 shown]
	v_sub_f16_e32 v44, v48, v49
	v_add_f16_e32 v46, v34, v48
	v_add_f16_e32 v48, v48, v49
	;; [unrolled: 1-line block ×4, first 2 shown]
	v_sub_f16_e32 v27, v27, v6
	v_sub_f16_e32 v7, v7, v15
	v_add_f16_e32 v6, v14, v6
	v_fma_f16 v14, -0.5, v23, v19
	v_add_f16_e32 v19, v25, v43
	v_fmac_f16_e32 v4, -0.5, v26
	v_add_f16_e32 v15, v28, v15
	v_fmac_f16_e32 v20, -0.5, v29
	;; [unrolled: 2-line block ×3, first 2 shown]
	v_sub_f16_e32 v16, v16, v17
	v_sub_f16_e32 v18, v18, v13
	v_fma_f16 v21, -0.5, v37, v21
	v_fmac_f16_e32 v32, -0.5, v40
	v_fmac_f16_e32 v22, -0.5, v42
	;; [unrolled: 1-line block ×3, first 2 shown]
	v_add_f16_e32 v17, v36, v17
	v_add_f16_e32 v25, v39, v47
	;; [unrolled: 1-line block ×4, first 2 shown]
	v_fmamk_f16 v28, v24, 0x3aee, v14
	v_fmac_f16_e32 v14, 0xbaee, v24
	v_fmamk_f16 v24, v27, 0xbaee, v4
	v_fmac_f16_e32 v4, 0x3aee, v27
	v_fmamk_f16 v27, v30, 0x3aee, v20
	v_fmamk_f16 v29, v7, 0xbaee, v31
	v_pack_b32_f16 v6, v6, v19
	v_pack_b32_f16 v15, v15, v23
	v_fmac_f16_e32 v20, 0xbaee, v30
	v_fmac_f16_e32 v31, 0x3aee, v7
	v_fmamk_f16 v7, v38, 0x3aee, v21
	v_fmamk_f16 v30, v16, 0xbaee, v32
	v_fmac_f16_e32 v32, 0x3aee, v16
	v_fmamk_f16 v16, v44, 0x3aee, v22
	v_fmamk_f16 v33, v18, 0xbaee, v34
	v_fmac_f16_e32 v21, 0xbaee, v38
	v_fmac_f16_e32 v22, 0xbaee, v44
	;; [unrolled: 1-line block ×3, first 2 shown]
	v_pack_b32_f16 v17, v17, v25
	v_pack_b32_f16 v13, v13, v26
	;; [unrolled: 1-line block ×3, first 2 shown]
	ds_store_2addr_b32 v8, v6, v15 offset1:243
	v_pack_b32_f16 v6, v27, v29
	v_pack_b32_f16 v4, v14, v4
	;; [unrolled: 1-line block ×7, first 2 shown]
	ds_store_2addr_b32 v9, v17, v13 offset0:6 offset1:249
	ds_store_2addr_b32 v10, v18, v6 offset0:12 offset1:255
	;; [unrolled: 1-line block ×5, first 2 shown]
	global_wb scope:SCOPE_SE
	s_wait_dscnt 0x0
	s_barrier_signal -1
	s_barrier_wait -1
	global_inv scope:SCOPE_SE
	s_and_saveexec_b32 s0, vcc_lo
	s_cbranch_execz .LBB0_19
; %bb.18:
	v_dual_mov_b32 v1, v5 :: v_dual_add_nc_u32 v4, 0xf3, v0
	v_add_co_u32 v38, vcc_lo, s8, v2
	v_lshl_add_u32 v34, v0, 2, 0
	s_delay_alu instid0(VALU_DEP_3) | instskip(NEXT) | instid1(VALU_DEP_4)
	v_lshlrev_b64_e32 v[8:9], 2, v[0:1]
	v_lshlrev_b64_e32 v[1:2], 2, v[4:5]
	v_add_nc_u32_e32 v4, 0x1e6, v0
	s_wait_alu 0xfffd
	v_add_co_ci_u32_e32 v39, vcc_lo, s9, v3, vcc_lo
	v_add_nc_u32_e32 v3, 0x780, v34
	v_add_co_u32 v8, vcc_lo, v38, v8
	v_lshlrev_b64_e32 v[10:11], 2, v[4:5]
	v_add_nc_u32_e32 v4, 0x2d9, v0
	s_wait_alu 0xfffd
	v_add_co_ci_u32_e32 v9, vcc_lo, v39, v9, vcc_lo
	v_add_co_u32 v1, vcc_lo, v38, v1
	s_delay_alu instid0(VALU_DEP_3)
	v_lshlrev_b64_e32 v[14:15], 2, v[4:5]
	v_add_nc_u32_e32 v4, 0x3cc, v0
	s_wait_alu 0xfffd
	v_add_co_ci_u32_e32 v2, vcc_lo, v39, v2, vcc_lo
	ds_load_2addr_b32 v[12:13], v3 offset0:6 offset1:249
	v_add_nc_u32_e32 v3, 0xf00, v34
	v_lshlrev_b64_e32 v[16:17], 2, v[4:5]
	v_add_nc_u32_e32 v4, 0x4bf, v0
	v_add_co_u32 v10, vcc_lo, v38, v10
	s_wait_alu 0xfffd
	v_add_co_ci_u32_e32 v11, vcc_lo, v39, v11, vcc_lo
	s_delay_alu instid0(VALU_DEP_3)
	v_lshlrev_b64_e32 v[20:21], 2, v[4:5]
	v_add_nc_u32_e32 v4, 0x5b2, v0
	v_add_co_u32 v14, vcc_lo, v38, v14
	ds_load_2addr_b32 v[18:19], v3 offset0:12 offset1:255
	v_add_nc_u32_e32 v3, 0x16c0, v34
	v_lshlrev_b64_e32 v[22:23], 2, v[4:5]
	v_add_nc_u32_e32 v4, 0x6a5, v0
	s_wait_alu 0xfffd
	v_add_co_ci_u32_e32 v15, vcc_lo, v39, v15, vcc_lo
	v_add_co_u32 v16, vcc_lo, v38, v16
	s_delay_alu instid0(VALU_DEP_3)
	v_lshlrev_b64_e32 v[26:27], 2, v[4:5]
	v_add_nc_u32_e32 v4, 0x798, v0
	s_wait_alu 0xfffd
	v_add_co_ci_u32_e32 v17, vcc_lo, v39, v17, vcc_lo
	ds_load_2addr_b32 v[6:7], v34 offset1:243
	v_add_co_u32 v20, vcc_lo, v38, v20
	v_lshlrev_b64_e32 v[28:29], 2, v[4:5]
	v_add_nc_u32_e32 v4, 0x88b, v0
	ds_load_2addr_b32 v[24:25], v3 offset0:2 offset1:245
	v_add_nc_u32_e32 v3, 0x1e40, v34
	s_wait_alu 0xfffd
	v_add_co_ci_u32_e32 v21, vcc_lo, v39, v21, vcc_lo
	v_lshlrev_b64_e32 v[32:33], 2, v[4:5]
	v_add_nc_u32_e32 v4, 0x97e, v0
	v_add_co_u32 v22, vcc_lo, v38, v22
	s_wait_alu 0xfffd
	v_add_co_ci_u32_e32 v23, vcc_lo, v39, v23, vcc_lo
	ds_load_2addr_b32 v[30:31], v3 offset0:8 offset1:251
	v_add_nc_u32_e32 v3, 0x25e0, v34
	v_add_co_u32 v26, vcc_lo, v38, v26
	v_lshlrev_b64_e32 v[34:35], 2, v[4:5]
	v_add_nc_u32_e32 v4, 0xa71, v0
	s_wait_alu 0xfffd
	v_add_co_ci_u32_e32 v27, vcc_lo, v39, v27, vcc_lo
	v_add_co_u32 v28, vcc_lo, v38, v28
	ds_load_2addr_b32 v[36:37], v3 offset0:6 offset1:249
	s_wait_alu 0xfffd
	v_add_co_ci_u32_e32 v29, vcc_lo, v39, v29, vcc_lo
	v_add_co_u32 v32, vcc_lo, v38, v32
	v_lshlrev_b64_e32 v[3:4], 2, v[4:5]
	s_wait_alu 0xfffd
	v_add_co_ci_u32_e32 v33, vcc_lo, v39, v33, vcc_lo
	v_add_co_u32 v34, vcc_lo, v38, v34
	s_wait_alu 0xfffd
	v_add_co_ci_u32_e32 v35, vcc_lo, v39, v35, vcc_lo
	v_add_co_u32 v3, vcc_lo, v38, v3
	s_wait_alu 0xfffd
	v_add_co_ci_u32_e32 v4, vcc_lo, v39, v4, vcc_lo
	s_wait_dscnt 0x3
	s_clause 0x5
	global_store_b32 v[8:9], v6, off
	global_store_b32 v[1:2], v7, off
	;; [unrolled: 1-line block ×6, first 2 shown]
	s_wait_dscnt 0x2
	s_clause 0x1
	global_store_b32 v[22:23], v24, off
	global_store_b32 v[26:27], v25, off
	s_wait_dscnt 0x1
	s_clause 0x1
	global_store_b32 v[28:29], v30, off
	global_store_b32 v[32:33], v31, off
	;; [unrolled: 4-line block ×3, first 2 shown]
.LBB0_19:
	s_nop 0
	s_sendmsg sendmsg(MSG_DEALLOC_VGPRS)
	s_endpgm
	.section	.rodata,"a",@progbits
	.p2align	6, 0x0
	.amdhsa_kernel fft_rtc_fwd_len2916_factors_6_6_3_3_3_3_wgs_243_tpt_243_halfLds_half_ip_CI_unitstride_sbrr_C2R_dirReg
		.amdhsa_group_segment_fixed_size 0
		.amdhsa_private_segment_fixed_size 0
		.amdhsa_kernarg_size 88
		.amdhsa_user_sgpr_count 2
		.amdhsa_user_sgpr_dispatch_ptr 0
		.amdhsa_user_sgpr_queue_ptr 0
		.amdhsa_user_sgpr_kernarg_segment_ptr 1
		.amdhsa_user_sgpr_dispatch_id 0
		.amdhsa_user_sgpr_private_segment_size 0
		.amdhsa_wavefront_size32 1
		.amdhsa_uses_dynamic_stack 0
		.amdhsa_enable_private_segment 0
		.amdhsa_system_sgpr_workgroup_id_x 1
		.amdhsa_system_sgpr_workgroup_id_y 0
		.amdhsa_system_sgpr_workgroup_id_z 0
		.amdhsa_system_sgpr_workgroup_info 0
		.amdhsa_system_vgpr_workitem_id 0
		.amdhsa_next_free_vgpr 82
		.amdhsa_next_free_sgpr 32
		.amdhsa_reserve_vcc 1
		.amdhsa_float_round_mode_32 0
		.amdhsa_float_round_mode_16_64 0
		.amdhsa_float_denorm_mode_32 3
		.amdhsa_float_denorm_mode_16_64 3
		.amdhsa_fp16_overflow 0
		.amdhsa_workgroup_processor_mode 1
		.amdhsa_memory_ordered 1
		.amdhsa_forward_progress 0
		.amdhsa_round_robin_scheduling 0
		.amdhsa_exception_fp_ieee_invalid_op 0
		.amdhsa_exception_fp_denorm_src 0
		.amdhsa_exception_fp_ieee_div_zero 0
		.amdhsa_exception_fp_ieee_overflow 0
		.amdhsa_exception_fp_ieee_underflow 0
		.amdhsa_exception_fp_ieee_inexact 0
		.amdhsa_exception_int_div_zero 0
	.end_amdhsa_kernel
	.text
.Lfunc_end0:
	.size	fft_rtc_fwd_len2916_factors_6_6_3_3_3_3_wgs_243_tpt_243_halfLds_half_ip_CI_unitstride_sbrr_C2R_dirReg, .Lfunc_end0-fft_rtc_fwd_len2916_factors_6_6_3_3_3_3_wgs_243_tpt_243_halfLds_half_ip_CI_unitstride_sbrr_C2R_dirReg
                                        ; -- End function
	.section	.AMDGPU.csdata,"",@progbits
; Kernel info:
; codeLenInByte = 10176
; NumSgprs: 34
; NumVgprs: 82
; ScratchSize: 0
; MemoryBound: 0
; FloatMode: 240
; IeeeMode: 1
; LDSByteSize: 0 bytes/workgroup (compile time only)
; SGPRBlocks: 4
; VGPRBlocks: 10
; NumSGPRsForWavesPerEU: 34
; NumVGPRsForWavesPerEU: 82
; Occupancy: 16
; WaveLimiterHint : 1
; COMPUTE_PGM_RSRC2:SCRATCH_EN: 0
; COMPUTE_PGM_RSRC2:USER_SGPR: 2
; COMPUTE_PGM_RSRC2:TRAP_HANDLER: 0
; COMPUTE_PGM_RSRC2:TGID_X_EN: 1
; COMPUTE_PGM_RSRC2:TGID_Y_EN: 0
; COMPUTE_PGM_RSRC2:TGID_Z_EN: 0
; COMPUTE_PGM_RSRC2:TIDIG_COMP_CNT: 0
	.text
	.p2alignl 7, 3214868480
	.fill 96, 4, 3214868480
	.type	__hip_cuid_2d0384ad76e4b52f,@object ; @__hip_cuid_2d0384ad76e4b52f
	.section	.bss,"aw",@nobits
	.globl	__hip_cuid_2d0384ad76e4b52f
__hip_cuid_2d0384ad76e4b52f:
	.byte	0                               ; 0x0
	.size	__hip_cuid_2d0384ad76e4b52f, 1

	.ident	"AMD clang version 19.0.0git (https://github.com/RadeonOpenCompute/llvm-project roc-6.4.0 25133 c7fe45cf4b819c5991fe208aaa96edf142730f1d)"
	.section	".note.GNU-stack","",@progbits
	.addrsig
	.addrsig_sym __hip_cuid_2d0384ad76e4b52f
	.amdgpu_metadata
---
amdhsa.kernels:
  - .args:
      - .actual_access:  read_only
        .address_space:  global
        .offset:         0
        .size:           8
        .value_kind:     global_buffer
      - .offset:         8
        .size:           8
        .value_kind:     by_value
      - .actual_access:  read_only
        .address_space:  global
        .offset:         16
        .size:           8
        .value_kind:     global_buffer
      - .actual_access:  read_only
        .address_space:  global
        .offset:         24
        .size:           8
        .value_kind:     global_buffer
      - .offset:         32
        .size:           8
        .value_kind:     by_value
      - .actual_access:  read_only
        .address_space:  global
        .offset:         40
        .size:           8
        .value_kind:     global_buffer
      - .actual_access:  read_only
        .address_space:  global
        .offset:         48
        .size:           8
        .value_kind:     global_buffer
      - .offset:         56
        .size:           4
        .value_kind:     by_value
      - .actual_access:  read_only
        .address_space:  global
        .offset:         64
        .size:           8
        .value_kind:     global_buffer
      - .actual_access:  read_only
        .address_space:  global
        .offset:         72
        .size:           8
        .value_kind:     global_buffer
      - .address_space:  global
        .offset:         80
        .size:           8
        .value_kind:     global_buffer
    .group_segment_fixed_size: 0
    .kernarg_segment_align: 8
    .kernarg_segment_size: 88
    .language:       OpenCL C
    .language_version:
      - 2
      - 0
    .max_flat_workgroup_size: 243
    .name:           fft_rtc_fwd_len2916_factors_6_6_3_3_3_3_wgs_243_tpt_243_halfLds_half_ip_CI_unitstride_sbrr_C2R_dirReg
    .private_segment_fixed_size: 0
    .sgpr_count:     34
    .sgpr_spill_count: 0
    .symbol:         fft_rtc_fwd_len2916_factors_6_6_3_3_3_3_wgs_243_tpt_243_halfLds_half_ip_CI_unitstride_sbrr_C2R_dirReg.kd
    .uniform_work_group_size: 1
    .uses_dynamic_stack: false
    .vgpr_count:     82
    .vgpr_spill_count: 0
    .wavefront_size: 32
    .workgroup_processor_mode: 1
amdhsa.target:   amdgcn-amd-amdhsa--gfx1201
amdhsa.version:
  - 1
  - 2
...

	.end_amdgpu_metadata
